;; amdgpu-corpus repo=ROCm/rocFFT kind=compiled arch=gfx906 opt=O3
	.text
	.amdgcn_target "amdgcn-amd-amdhsa--gfx906"
	.amdhsa_code_object_version 6
	.protected	bluestein_single_back_len448_dim1_sp_op_CI_CI ; -- Begin function bluestein_single_back_len448_dim1_sp_op_CI_CI
	.globl	bluestein_single_back_len448_dim1_sp_op_CI_CI
	.p2align	8
	.type	bluestein_single_back_len448_dim1_sp_op_CI_CI,@function
bluestein_single_back_len448_dim1_sp_op_CI_CI: ; @bluestein_single_back_len448_dim1_sp_op_CI_CI
; %bb.0:
	s_load_dwordx4 s[0:3], s[4:5], 0x28
	v_lshrrev_b32_e32 v1, 6, v0
	v_lshl_or_b32 v40, s6, 1, v1
	v_mov_b32_e32 v41, 0
	s_waitcnt lgkmcnt(0)
	v_cmp_gt_u64_e32 vcc, s[0:1], v[40:41]
	s_and_saveexec_b64 s[0:1], vcc
	s_cbranch_execz .LBB0_23
; %bb.1:
	s_load_dwordx2 s[10:11], s[4:5], 0x0
	s_load_dwordx2 s[8:9], s[4:5], 0x38
	v_and_b32_e32 v43, 63, v0
	v_and_b32_e32 v0, 1, v1
	v_mov_b32_e32 v1, 0x1c0
	v_cmp_eq_u32_e32 vcc, 1, v0
	v_cndmask_b32_e32 v45, 0, v1, vcc
	v_cmp_gt_u32_e32 vcc, 56, v43
	v_lshlrev_b32_e32 v44, 3, v43
	v_or_b32_e32 v16, v45, v43
	s_and_saveexec_b64 s[6:7], vcc
	s_cbranch_execz .LBB0_3
; %bb.2:
	s_load_dwordx2 s[0:1], s[4:5], 0x18
	v_lshlrev_b32_e32 v35, 3, v16
	v_lshl_add_u32 v36, v45, 3, v44
	s_waitcnt lgkmcnt(0)
	s_load_dwordx4 s[12:15], s[0:1], 0x0
	s_waitcnt lgkmcnt(0)
	v_mad_u64_u32 v[0:1], s[0:1], s14, v40, 0
	v_mad_u64_u32 v[2:3], s[0:1], s12, v43, 0
	;; [unrolled: 1-line block ×4, first 2 shown]
	v_mov_b32_e32 v1, v4
	v_lshlrev_b64 v[0:1], 3, v[0:1]
	v_mov_b32_e32 v3, v5
	v_mov_b32_e32 v6, s3
	v_lshlrev_b64 v[2:3], 3, v[2:3]
	v_add_co_u32_e64 v0, s[0:1], s2, v0
	v_addc_co_u32_e64 v1, s[0:1], v6, v1, s[0:1]
	v_add_co_u32_e64 v0, s[0:1], v0, v2
	v_addc_co_u32_e64 v1, s[0:1], v1, v3, s[0:1]
	s_mul_i32 s0, s13, 0x1c0
	s_mul_hi_u32 s1, s12, 0x1c0
	s_add_i32 s2, s1, s0
	s_mul_i32 s3, s12, 0x1c0
	v_mov_b32_e32 v5, s2
	v_add_co_u32_e64 v4, s[0:1], s3, v0
	v_addc_co_u32_e64 v5, s[0:1], v1, v5, s[0:1]
	v_mov_b32_e32 v7, s2
	v_add_co_u32_e64 v6, s[0:1], s3, v4
	v_addc_co_u32_e64 v7, s[0:1], v5, v7, s[0:1]
	;; [unrolled: 3-line block ×3, first 2 shown]
	global_load_dwordx2 v[2:3], v44, s[10:11]
	global_load_dwordx2 v[10:11], v[0:1], off
	global_load_dwordx2 v[12:13], v[4:5], off
	global_load_dwordx2 v[14:15], v[6:7], off
	global_load_dwordx2 v[17:18], v[8:9], off
	global_load_dwordx2 v[19:20], v44, s[10:11] offset:448
	global_load_dwordx2 v[21:22], v44, s[10:11] offset:896
	;; [unrolled: 1-line block ×3, first 2 shown]
	v_mov_b32_e32 v1, s2
	v_add_co_u32_e64 v0, s[0:1], s3, v8
	v_addc_co_u32_e64 v1, s[0:1], v9, v1, s[0:1]
	global_load_dwordx2 v[4:5], v[0:1], off
	v_mov_b32_e32 v6, s2
	v_add_co_u32_e64 v0, s[0:1], s3, v0
	v_addc_co_u32_e64 v1, s[0:1], v1, v6, s[0:1]
	global_load_dwordx2 v[6:7], v[0:1], off
	global_load_dwordx2 v[8:9], v44, s[10:11] offset:1792
	global_load_dwordx2 v[25:26], v44, s[10:11] offset:2240
	v_mov_b32_e32 v27, s2
	v_add_co_u32_e64 v0, s[0:1], s3, v0
	v_addc_co_u32_e64 v1, s[0:1], v1, v27, s[0:1]
	global_load_dwordx2 v[27:28], v[0:1], off
	global_load_dwordx2 v[29:30], v44, s[10:11] offset:2688
	v_mov_b32_e32 v31, s2
	v_add_co_u32_e64 v0, s[0:1], s3, v0
	v_addc_co_u32_e64 v1, s[0:1], v1, v31, s[0:1]
	global_load_dwordx2 v[31:32], v44, s[10:11] offset:3136
	global_load_dwordx2 v[33:34], v[0:1], off
	s_waitcnt vmcnt(14)
	v_mul_f32_e32 v0, v11, v3
	v_mul_f32_e32 v1, v10, v3
	v_fmac_f32_e32 v0, v10, v2
	v_fma_f32 v1, v11, v2, -v1
	s_waitcnt vmcnt(10)
	v_mul_f32_e32 v2, v13, v20
	v_mul_f32_e32 v3, v12, v20
	ds_write_b64 v35, v[0:1]
	s_waitcnt vmcnt(9)
	v_mul_f32_e32 v0, v15, v22
	v_mul_f32_e32 v1, v14, v22
	v_fmac_f32_e32 v2, v12, v19
	v_fma_f32 v3, v13, v19, -v3
	v_fmac_f32_e32 v0, v14, v21
	v_fma_f32 v1, v15, v21, -v1
	s_waitcnt vmcnt(8)
	v_mul_f32_e32 v10, v18, v24
	v_mul_f32_e32 v11, v17, v24
	ds_write2_b64 v36, v[2:3], v[0:1] offset0:56 offset1:112
	s_waitcnt vmcnt(5)
	v_mul_f32_e32 v0, v5, v9
	v_mul_f32_e32 v1, v4, v9
	v_fmac_f32_e32 v10, v17, v23
	v_fma_f32 v11, v18, v23, -v11
	v_fmac_f32_e32 v0, v4, v8
	v_fma_f32 v1, v5, v8, -v1
	s_waitcnt vmcnt(4)
	v_mul_f32_e32 v2, v7, v26
	v_mul_f32_e32 v3, v6, v26
	ds_write2_b64 v36, v[10:11], v[0:1] offset0:168 offset1:224
	s_waitcnt vmcnt(2)
	v_mul_f32_e32 v0, v28, v30
	v_mul_f32_e32 v1, v27, v30
	v_fmac_f32_e32 v2, v6, v25
	v_fma_f32 v3, v7, v25, -v3
	v_fmac_f32_e32 v0, v27, v29
	v_fma_f32 v1, v28, v29, -v1
	v_add_u32_e32 v4, 0x800, v36
	ds_write2_b64 v4, v[2:3], v[0:1] offset0:24 offset1:80
	s_waitcnt vmcnt(0)
	v_mul_f32_e32 v0, v34, v32
	v_mul_f32_e32 v1, v33, v32
	v_fmac_f32_e32 v0, v33, v31
	v_fma_f32 v1, v34, v31, -v1
	ds_write_b64 v36, v[0:1] offset:3136
.LBB0_3:
	s_or_b64 exec, exec, s[6:7]
	s_load_dwordx2 s[2:3], s[4:5], 0x20
	s_load_dwordx2 s[0:1], s[4:5], 0x8
	v_lshlrev_b32_e32 v47, 3, v45
	s_waitcnt lgkmcnt(0)
	s_barrier
	s_waitcnt lgkmcnt(0)
                                        ; implicit-def: $vgpr14
                                        ; implicit-def: $vgpr10
                                        ; implicit-def: $vgpr6
                                        ; implicit-def: $vgpr2
                                        ; implicit-def: $vgpr12
	s_and_saveexec_b64 s[4:5], vcc
	s_cbranch_execz .LBB0_5
; %bb.4:
	v_lshl_add_u32 v14, v43, 3, v47
	v_lshlrev_b32_e32 v12, 3, v16
	v_add_u32_e32 v8, 0x800, v14
	ds_read2_b64 v[0:3], v14 offset0:56 offset1:112
	ds_read2_b64 v[4:7], v14 offset0:168 offset1:224
	;; [unrolled: 1-line block ×3, first 2 shown]
	ds_read_b64 v[12:13], v12
	ds_read_b64 v[14:15], v14 offset:3136
.LBB0_5:
	s_or_b64 exec, exec, s[4:5]
	s_waitcnt lgkmcnt(1)
	v_sub_f32_e32 v6, v12, v6
	v_sub_f32_e32 v17, v13, v7
	;; [unrolled: 1-line block ×6, first 2 shown]
	s_waitcnt lgkmcnt(0)
	v_sub_f32_e32 v20, v4, v14
	v_sub_f32_e32 v15, v5, v15
	;; [unrolled: 1-line block ×3, first 2 shown]
	v_add_f32_e32 v11, v18, v17
	v_sub_f32_e32 v10, v7, v15
	v_add_f32_e32 v14, v20, v9
	v_mov_b32_e32 v26, v8
	v_mov_b32_e32 v27, v11
	v_fmac_f32_e32 v26, 0x3f3504f3, v10
	v_fmac_f32_e32 v27, 0x3f3504f3, v14
	;; [unrolled: 1-line block ×4, first 2 shown]
	s_barrier
	s_and_saveexec_b64 s[4:5], vcc
	s_cbranch_execz .LBB0_7
; %bb.6:
	v_fma_f32 v12, v12, 2.0, -v6
	v_fma_f32 v2, v2, 2.0, -v18
	;; [unrolled: 1-line block ×4, first 2 shown]
	v_sub_f32_e32 v18, v12, v2
	v_fma_f32 v1, v1, 2.0, -v9
	v_fma_f32 v2, v5, 2.0, -v15
	v_sub_f32_e32 v23, v13, v3
	v_fma_f32 v0, v0, 2.0, -v7
	v_fma_f32 v3, v4, 2.0, -v20
	v_sub_f32_e32 v5, v1, v2
	v_fma_f32 v2, v17, 2.0, -v11
	v_sub_f32_e32 v4, v0, v3
	v_fma_f32 v9, v9, 2.0, -v14
	v_mov_b32_e32 v3, v2
	v_fmac_f32_e32 v3, 0xbf3504f3, v9
	v_fma_f32 v10, v7, 2.0, -v10
	v_fma_f32 v21, v8, 2.0, -v26
	v_fmac_f32_e32 v3, 0x3f3504f3, v10
	v_fma_f32 v6, v6, 2.0, -v8
	v_fma_f32 v8, v13, 2.0, -v23
	;; [unrolled: 1-line block ×4, first 2 shown]
	v_mov_b32_e32 v2, v6
	v_sub_f32_e32 v1, v8, v1
	v_sub_f32_e32 v24, v18, v5
	v_fmac_f32_e32 v2, 0xbf3504f3, v10
	v_fma_f32 v5, v8, 2.0, -v1
	v_fma_f32 v8, v12, 2.0, -v18
	;; [unrolled: 1-line block ×3, first 2 shown]
	v_fmac_f32_e32 v2, 0xbf3504f3, v9
	v_sub_f32_e32 v0, v8, v0
	v_add_f32_e32 v25, v4, v23
	v_fma_f32 v6, v6, 2.0, -v2
	v_fma_f32 v4, v8, 2.0, -v0
	v_add_lshl_u32 v8, v45, v44, 3
	v_fma_f32 v22, v11, 2.0, -v27
	v_fma_f32 v20, v23, 2.0, -v25
	;; [unrolled: 1-line block ×3, first 2 shown]
	ds_write_b128 v8, v[4:7]
	ds_write_b128 v8, v[19:22] offset:16
	ds_write_b128 v8, v[0:3] offset:32
	;; [unrolled: 1-line block ×3, first 2 shown]
.LBB0_7:
	s_or_b64 exec, exec, s[4:5]
	v_and_b32_e32 v41, 7, v43
	v_mul_u32_u24_e32 v0, 6, v41
	v_lshlrev_b32_e32 v12, 3, v0
	s_load_dwordx4 s[4:7], s[2:3], 0x0
	s_waitcnt lgkmcnt(0)
	s_barrier
	global_load_dwordx4 v[8:11], v12, s[0:1]
	global_load_dwordx4 v[4:7], v12, s[0:1] offset:16
	global_load_dwordx4 v[0:3], v12, s[0:1] offset:32
	v_lshlrev_b32_e32 v46, 3, v16
	ds_read2st64_b64 v[12:15], v46 offset1:1
	ds_read2st64_b64 v[16:19], v46 offset0:2 offset1:3
	ds_read2st64_b64 v[20:23], v46 offset0:4 offset1:5
	ds_read_b64 v[24:25], v46 offset:3072
	s_mov_b32 s3, 0x3f3bfb3b
	s_mov_b32 s2, 0x3f5ff5aa
	;; [unrolled: 1-line block ×3, first 2 shown]
	s_waitcnt vmcnt(0) lgkmcnt(0)
	s_barrier
	v_mul_f32_e32 v28, v15, v9
	v_mul_f32_e32 v30, v17, v11
	;; [unrolled: 1-line block ×9, first 2 shown]
	v_fma_f32 v16, v16, v10, -v30
	v_fmac_f32_e32 v31, v17, v10
	v_fma_f32 v17, v18, v4, -v32
	v_fmac_f32_e32 v33, v19, v4
	v_fma_f32 v14, v14, v8, -v28
	v_fma_f32 v18, v22, v0, -v36
	;; [unrolled: 1-line block ×3, first 2 shown]
	v_mul_f32_e32 v35, v20, v7
	v_mul_f32_e32 v37, v22, v1
	v_fmac_f32_e32 v29, v15, v8
	v_fma_f32 v15, v20, v6, -v34
	v_add_f32_e32 v20, v14, v19
	v_add_f32_e32 v22, v16, v18
	v_mul_f32_e32 v39, v24, v3
	v_fmac_f32_e32 v35, v21, v6
	v_fmac_f32_e32 v37, v23, v0
	v_sub_f32_e32 v16, v16, v18
	v_add_f32_e32 v24, v17, v15
	v_sub_f32_e32 v15, v15, v17
	v_add_f32_e32 v28, v22, v20
	v_fmac_f32_e32 v39, v25, v2
	v_sub_f32_e32 v14, v14, v19
	v_sub_f32_e32 v18, v31, v37
	;; [unrolled: 1-line block ×6, first 2 shown]
	v_add_f32_e32 v32, v15, v16
	v_add_f32_e32 v24, v24, v28
	;; [unrolled: 1-line block ×3, first 2 shown]
	v_sub_f32_e32 v19, v29, v39
	v_add_f32_e32 v23, v31, v37
	v_add_f32_e32 v25, v33, v35
	v_sub_f32_e32 v34, v15, v16
	v_sub_f32_e32 v35, v17, v18
	;; [unrolled: 1-line block ×4, first 2 shown]
	v_add_f32_e32 v14, v32, v14
	v_mul_f32_e32 v32, 0x3d64c772, v22
	v_add_f32_e32 v28, v12, v24
	v_add_f32_e32 v29, v23, v21
	;; [unrolled: 1-line block ×3, first 2 shown]
	v_sub_f32_e32 v18, v18, v19
	v_mul_f32_e32 v48, 0xbf08b237, v35
	v_fma_f32 v12, v30, s3, -v32
	v_mov_b32_e32 v32, v28
	v_sub_f32_e32 v31, v23, v21
	v_sub_f32_e32 v21, v21, v25
	;; [unrolled: 1-line block ×4, first 2 shown]
	v_add_f32_e32 v25, v25, v29
	v_add_f32_e32 v19, v33, v19
	v_mul_f32_e32 v42, 0xbf08b237, v34
	v_mul_f32_e32 v35, 0x3f5ff5aa, v18
	v_fmac_f32_e32 v32, 0xbf955555, v24
	v_fma_f32 v18, v18, s2, -v48
	v_mul_f32_e32 v33, 0x3d64c772, v23
	v_mul_f32_e32 v34, 0x3f5ff5aa, v16
	v_add_f32_e32 v29, v13, v25
	v_fma_f32 v16, v16, s2, -v42
	s_mov_b32 s2, 0xbeae86e6
	v_add_f32_e32 v12, v12, v32
	v_fmac_f32_e32 v18, 0x3ee1c552, v19
	v_mul_f32_e32 v20, 0x3f4a47b2, v20
	v_mul_f32_e32 v21, 0x3f4a47b2, v21
	v_fma_f32 v13, v31, s3, -v33
	v_mov_b32_e32 v33, v29
	v_fmac_f32_e32 v42, 0x3eae86e6, v15
	v_fma_f32 v15, v15, s2, -v34
	v_sub_f32_e32 v34, v12, v18
	v_add_f32_e32 v36, v18, v12
	v_lshrrev_b32_e32 v12, 3, v43
	v_fma_f32 v30, v30, s12, -v20
	v_fmac_f32_e32 v33, 0xbf955555, v25
	v_fmac_f32_e32 v20, 0x3d64c772, v22
	v_fma_f32 v22, v31, s12, -v21
	v_fmac_f32_e32 v21, 0x3d64c772, v23
	v_fmac_f32_e32 v48, 0x3eae86e6, v17
	v_fma_f32 v17, v17, s2, -v35
	v_mul_u32_u24_e32 v12, 56, v12
	v_add_f32_e32 v20, v20, v32
	v_add_f32_e32 v21, v21, v33
	;; [unrolled: 1-line block ×5, first 2 shown]
	v_fmac_f32_e32 v42, 0x3ee1c552, v14
	v_fmac_f32_e32 v48, 0x3ee1c552, v19
	;; [unrolled: 1-line block ×5, first 2 shown]
	v_or_b32_e32 v12, v12, v41
	v_add_f32_e32 v30, v48, v20
	v_sub_f32_e32 v31, v21, v42
	v_add_f32_e32 v32, v17, v23
	v_sub_f32_e32 v33, v22, v15
	;; [unrolled: 2-line block ×3, first 2 shown]
	v_sub_f32_e32 v38, v23, v17
	v_add_f32_e32 v39, v15, v22
	v_sub_f32_e32 v24, v20, v48
	v_add_f32_e32 v25, v42, v21
	v_add_lshl_u32 v48, v45, v12, 3
	ds_write2_b64 v48, v[28:29], v[30:31] offset1:8
	ds_write2_b64 v48, v[32:33], v[34:35] offset0:16 offset1:24
	ds_write2_b64 v48, v[36:37], v[38:39] offset0:32 offset1:40
	ds_write_b64 v48, v[24:25] offset:384
	s_waitcnt lgkmcnt(0)
	s_barrier
	s_and_saveexec_b64 s[2:3], vcc
	s_cbranch_execz .LBB0_9
; %bb.8:
	v_add_u32_e32 v12, 0x400, v46
	ds_read2_b64 v[28:31], v46 offset1:56
	ds_read2_b64 v[32:35], v46 offset0:112 offset1:168
	ds_read2_b64 v[36:39], v12 offset0:96 offset1:152
	v_add_u32_e32 v12, 0x800, v46
	ds_read2_b64 v[24:27], v12 offset0:80 offset1:136
.LBB0_9:
	s_or_b64 exec, exec, s[2:3]
	v_subrev_u32_e32 v12, 56, v43
	v_cndmask_b32_e32 v12, v12, v43, vcc
	v_mul_hi_i32_i24_e32 v13, 56, v12
	v_mul_i32_i24_e32 v12, 56, v12
	v_mov_b32_e32 v14, s1
	v_add_co_u32_e64 v49, s[0:1], s0, v12
	v_addc_co_u32_e64 v50, s[0:1], v14, v13, s[0:1]
	global_load_dwordx4 v[20:23], v[49:50], off offset:384
	global_load_dwordx4 v[12:15], v[49:50], off offset:400
	;; [unrolled: 1-line block ×3, first 2 shown]
	global_load_dwordx2 v[41:42], v[49:50], off offset:432
	s_waitcnt vmcnt(3) lgkmcnt(3)
	v_mul_f32_e32 v49, v31, v21
	v_mul_f32_e32 v50, v30, v21
	s_waitcnt lgkmcnt(2)
	v_mul_f32_e32 v51, v33, v23
	v_mul_f32_e32 v52, v32, v23
	s_waitcnt vmcnt(2)
	v_mul_f32_e32 v53, v35, v13
	v_mul_f32_e32 v54, v34, v13
	s_waitcnt lgkmcnt(1)
	v_mul_f32_e32 v55, v37, v15
	v_mul_f32_e32 v56, v36, v15
	s_waitcnt vmcnt(1)
	;; [unrolled: 6-line block ×3, first 2 shown]
	v_mul_f32_e32 v61, v27, v42
	v_mul_f32_e32 v62, v26, v42
	v_fma_f32 v32, v32, v22, -v51
	v_fmac_f32_e32 v52, v33, v22
	v_fma_f32 v33, v34, v12, -v53
	v_fmac_f32_e32 v54, v35, v12
	;; [unrolled: 2-line block ×7, first 2 shown]
	v_sub_f32_e32 v26, v28, v34
	v_sub_f32_e32 v27, v29, v56
	;; [unrolled: 1-line block ×8, first 2 shown]
	v_fma_f32 v28, v28, 2.0, -v26
	v_fma_f32 v29, v29, 2.0, -v27
	;; [unrolled: 1-line block ×8, first 2 shown]
	v_sub_f32_e32 v50, v26, v31
	v_add_f32_e32 v51, v27, v24
	v_sub_f32_e32 v52, v34, v36
	v_add_f32_e32 v36, v35, v25
	v_sub_f32_e32 v31, v28, v32
	v_sub_f32_e32 v32, v29, v37
	;; [unrolled: 1-line block ×4, first 2 shown]
	v_fma_f32 v53, v26, 2.0, -v50
	v_fma_f32 v54, v27, 2.0, -v51
	;; [unrolled: 1-line block ×3, first 2 shown]
	v_mov_b32_e32 v38, v50
	v_mov_b32_e32 v39, v51
	v_fma_f32 v55, v34, 2.0, -v52
	v_fma_f32 v30, v30, 2.0, -v24
	;; [unrolled: 1-line block ×3, first 2 shown]
	v_sub_f32_e32 v26, v31, v25
	v_add_f32_e32 v27, v32, v24
	v_mov_b32_e32 v24, v53
	v_mov_b32_e32 v25, v54
	v_fma_f32 v28, v28, 2.0, -v31
	v_fma_f32 v29, v29, 2.0, -v32
	v_fmac_f32_e32 v38, 0x3f3504f3, v52
	v_fmac_f32_e32 v39, 0x3f3504f3, v36
	;; [unrolled: 1-line block ×4, first 2 shown]
	v_sub_f32_e32 v34, v28, v30
	v_sub_f32_e32 v35, v29, v35
	v_fmac_f32_e32 v38, 0xbf3504f3, v36
	v_fmac_f32_e32 v24, 0xbf3504f3, v33
	;; [unrolled: 1-line block ×4, first 2 shown]
	v_fma_f32 v30, v31, 2.0, -v26
	v_fma_f32 v31, v32, 2.0, -v27
	v_fma_f32 v36, v28, 2.0, -v34
	v_fma_f32 v37, v29, 2.0, -v35
	v_fma_f32 v28, v53, 2.0, -v24
	v_fma_f32 v29, v54, 2.0, -v25
	v_fma_f32 v32, v50, 2.0, -v38
	v_fma_f32 v33, v51, 2.0, -v39
	s_and_saveexec_b64 s[0:1], vcc
	s_cbranch_execz .LBB0_11
; %bb.10:
	v_lshl_add_u32 v49, v43, 3, v47
	v_add_u32_e32 v50, 0x800, v49
	ds_write_b64 v46, v[36:37]
	ds_write2_b64 v49, v[28:29], v[30:31] offset0:56 offset1:112
	ds_write2_b64 v49, v[32:33], v[34:35] offset0:168 offset1:224
	;; [unrolled: 1-line block ×3, first 2 shown]
	ds_write_b64 v49, v[38:39] offset:3136
.LBB0_11:
	s_or_b64 exec, exec, s[0:1]
	s_waitcnt lgkmcnt(0)
	s_barrier
	s_and_saveexec_b64 s[0:1], vcc
	s_cbranch_execz .LBB0_13
; %bb.12:
	global_load_dwordx2 v[51:52], v44, s[10:11] offset:3584
	ds_read_b64 v[49:50], v46
	s_add_u32 s2, s10, 0xe00
	s_addc_u32 s3, s11, 0
	v_lshl_add_u32 v57, v45, 3, v44
	v_add_u32_e32 v58, 0x800, v57
	s_waitcnt vmcnt(0) lgkmcnt(0)
	v_mul_f32_e32 v53, v50, v52
	v_mul_f32_e32 v54, v49, v52
	v_fma_f32 v53, v49, v51, -v53
	v_fmac_f32_e32 v54, v50, v51
	ds_write_b64 v46, v[53:54]
	global_load_dwordx2 v[53:54], v44, s[2:3] offset:448
	ds_read2_b64 v[49:52], v57 offset0:56 offset1:112
	s_waitcnt vmcnt(0) lgkmcnt(0)
	v_mul_f32_e32 v55, v50, v54
	v_mul_f32_e32 v56, v49, v54
	v_fma_f32 v55, v49, v53, -v55
	v_fmac_f32_e32 v56, v50, v53
	global_load_dwordx2 v[49:50], v44, s[2:3] offset:896
	s_waitcnt vmcnt(0)
	v_mul_f32_e32 v53, v52, v50
	v_mul_f32_e32 v54, v51, v50
	v_fma_f32 v53, v51, v49, -v53
	v_fmac_f32_e32 v54, v52, v49
	ds_write2_b64 v57, v[55:56], v[53:54] offset0:56 offset1:112
	global_load_dwordx2 v[53:54], v44, s[2:3] offset:1344
	ds_read2_b64 v[49:52], v57 offset0:168 offset1:224
	s_waitcnt vmcnt(0) lgkmcnt(0)
	v_mul_f32_e32 v55, v50, v54
	v_mul_f32_e32 v56, v49, v54
	v_fma_f32 v55, v49, v53, -v55
	v_fmac_f32_e32 v56, v50, v53
	global_load_dwordx2 v[49:50], v44, s[2:3] offset:1792
	s_waitcnt vmcnt(0)
	v_mul_f32_e32 v53, v52, v50
	v_mul_f32_e32 v54, v51, v50
	v_fma_f32 v53, v51, v49, -v53
	v_fmac_f32_e32 v54, v52, v49
	ds_write2_b64 v57, v[55:56], v[53:54] offset0:168 offset1:224
	global_load_dwordx2 v[53:54], v44, s[2:3] offset:2240
	ds_read2_b64 v[49:52], v58 offset0:24 offset1:80
	s_waitcnt vmcnt(0) lgkmcnt(0)
	v_mul_f32_e32 v55, v50, v54
	v_mul_f32_e32 v56, v49, v54
	v_fma_f32 v55, v49, v53, -v55
	v_fmac_f32_e32 v56, v50, v53
	global_load_dwordx2 v[49:50], v44, s[2:3] offset:2688
	s_waitcnt vmcnt(0)
	v_mul_f32_e32 v53, v52, v50
	v_mul_f32_e32 v54, v51, v50
	v_fma_f32 v53, v51, v49, -v53
	v_fmac_f32_e32 v54, v52, v49
	global_load_dwordx2 v[51:52], v44, s[2:3] offset:3136
	ds_read_b64 v[49:50], v57 offset:3136
	ds_write2_b64 v58, v[55:56], v[53:54] offset0:24 offset1:80
	s_waitcnt vmcnt(0) lgkmcnt(1)
	v_mul_f32_e32 v53, v50, v52
	v_mul_f32_e32 v54, v49, v52
	v_fma_f32 v53, v49, v51, -v53
	v_fmac_f32_e32 v54, v50, v51
	ds_write_b64 v57, v[53:54] offset:3136
.LBB0_13:
	s_or_b64 exec, exec, s[0:1]
	s_waitcnt lgkmcnt(0)
	s_barrier
	s_and_saveexec_b64 s[0:1], vcc
	s_cbranch_execz .LBB0_15
; %bb.14:
	v_lshl_add_u32 v38, v43, 3, v47
	v_add_u32_e32 v24, 0x800, v38
	ds_read2_b64 v[28:31], v38 offset0:56 offset1:112
	ds_read2_b64 v[32:35], v38 offset0:168 offset1:224
	ds_read2_b64 v[24:27], v24 offset0:24 offset1:80
	ds_read_b64 v[36:37], v46
	ds_read_b64 v[38:39], v38 offset:3136
.LBB0_15:
	s_or_b64 exec, exec, s[0:1]
	s_waitcnt lgkmcnt(1)
	v_sub_f32_e32 v34, v36, v34
	v_sub_f32_e32 v49, v37, v35
	;; [unrolled: 1-line block ×6, first 2 shown]
	s_waitcnt lgkmcnt(0)
	v_sub_f32_e32 v25, v32, v38
	v_sub_f32_e32 v24, v33, v39
	v_add_f32_e32 v38, v54, v34
	v_sub_f32_e32 v52, v49, v51
	v_add_f32_e32 v39, v24, v35
	v_sub_f32_e32 v53, v50, v25
	v_mov_b32_e32 v26, v38
	v_mov_b32_e32 v27, v52
	v_fmac_f32_e32 v26, 0x3f3504f3, v39
	v_fmac_f32_e32 v27, 0x3f3504f3, v53
	v_fmac_f32_e32 v26, 0x3f3504f3, v53
	v_fmac_f32_e32 v27, 0xbf3504f3, v39
	s_barrier
	s_and_saveexec_b64 s[0:1], vcc
	s_cbranch_execz .LBB0_17
; %bb.16:
	v_fma_f32 v36, v36, 2.0, -v34
	v_fma_f32 v30, v30, 2.0, -v51
	;; [unrolled: 1-line block ×4, first 2 shown]
	v_sub_f32_e32 v51, v36, v30
	v_fma_f32 v30, v49, 2.0, -v52
	v_sub_f32_e32 v58, v37, v31
	v_fma_f32 v49, v50, 2.0, -v53
	v_mov_b32_e32 v31, v30
	v_fmac_f32_e32 v31, 0xbf3504f3, v49
	v_fma_f32 v39, v35, 2.0, -v39
	v_fma_f32 v28, v28, 2.0, -v35
	;; [unrolled: 1-line block ×5, first 2 shown]
	v_fmac_f32_e32 v31, 0xbf3504f3, v39
	v_fma_f32 v34, v34, 2.0, -v38
	v_sub_f32_e32 v32, v28, v25
	v_sub_f32_e32 v33, v29, v24
	v_fma_f32 v35, v30, 2.0, -v31
	v_mov_b32_e32 v30, v34
	v_fmac_f32_e32 v30, 0xbf3504f3, v39
	v_fma_f32 v37, v37, 2.0, -v58
	v_fma_f32 v29, v29, 2.0, -v33
	;; [unrolled: 1-line block ×4, first 2 shown]
	v_fmac_f32_e32 v30, 0x3f3504f3, v49
	v_sub_f32_e32 v29, v37, v29
	v_sub_f32_e32 v28, v36, v28
	;; [unrolled: 1-line block ×3, first 2 shown]
	v_add_f32_e32 v24, v33, v51
	v_fma_f32 v34, v34, 2.0, -v30
	v_fma_f32 v33, v37, 2.0, -v29
	;; [unrolled: 1-line block ×3, first 2 shown]
	v_add_lshl_u32 v36, v45, v44, 3
	v_fma_f32 v57, v52, 2.0, -v27
	v_fma_f32 v56, v38, 2.0, -v26
	;; [unrolled: 1-line block ×4, first 2 shown]
	ds_write_b128 v36, v[32:35]
	ds_write_b128 v36, v[54:57] offset:16
	ds_write_b128 v36, v[28:31] offset:32
	;; [unrolled: 1-line block ×3, first 2 shown]
.LBB0_17:
	s_or_b64 exec, exec, s[0:1]
	s_waitcnt lgkmcnt(0)
	s_barrier
	ds_read2st64_b64 v[28:31], v46 offset1:1
	ds_read2st64_b64 v[32:35], v46 offset0:2 offset1:3
	ds_read2st64_b64 v[36:39], v46 offset0:4 offset1:5
	ds_read_b64 v[24:25], v46 offset:3072
	s_mov_b32 s1, 0x3f3bfb3b
	s_waitcnt lgkmcnt(3)
	v_mul_f32_e32 v49, v9, v31
	v_mul_f32_e32 v9, v9, v30
	v_fmac_f32_e32 v49, v8, v30
	v_fma_f32 v8, v8, v31, -v9
	s_waitcnt lgkmcnt(2)
	v_mul_f32_e32 v9, v11, v33
	v_mul_f32_e32 v11, v11, v32
	v_fmac_f32_e32 v9, v10, v32
	v_fma_f32 v10, v10, v33, -v11
	v_mul_f32_e32 v11, v5, v35
	v_mul_f32_e32 v5, v5, v34
	v_fmac_f32_e32 v11, v4, v34
	v_fma_f32 v4, v4, v35, -v5
	s_waitcnt lgkmcnt(1)
	v_mul_f32_e32 v5, v7, v37
	v_mul_f32_e32 v7, v7, v36
	v_fmac_f32_e32 v5, v6, v36
	v_fma_f32 v6, v6, v37, -v7
	;; [unrolled: 9-line block ×3, first 2 shown]
	v_add_f32_e32 v3, v49, v1
	v_add_f32_e32 v24, v8, v2
	v_sub_f32_e32 v2, v8, v2
	v_add_f32_e32 v8, v9, v7
	v_add_f32_e32 v25, v10, v0
	v_sub_f32_e32 v7, v9, v7
	v_sub_f32_e32 v0, v10, v0
	v_add_f32_e32 v9, v11, v5
	v_add_f32_e32 v10, v4, v6
	v_sub_f32_e32 v4, v6, v4
	v_add_f32_e32 v6, v8, v3
	v_sub_f32_e32 v5, v5, v11
	v_add_f32_e32 v11, v25, v24
	v_add_f32_e32 v6, v9, v6
	v_sub_f32_e32 v1, v49, v1
	v_sub_f32_e32 v30, v8, v3
	;; [unrolled: 1-line block ×4, first 2 shown]
	v_add_f32_e32 v32, v5, v7
	v_add_f32_e32 v33, v4, v0
	v_sub_f32_e32 v35, v4, v0
	v_sub_f32_e32 v36, v0, v2
	v_add_f32_e32 v9, v10, v11
	v_add_f32_e32 v0, v28, v6
	v_sub_f32_e32 v31, v25, v24
	v_sub_f32_e32 v24, v24, v10
	;; [unrolled: 1-line block ×6, first 2 shown]
	v_add_f32_e32 v10, v32, v1
	v_add_f32_e32 v1, v29, v9
	v_mul_f32_e32 v32, 0x3f08b237, v35
	v_mov_b32_e32 v35, v0
	v_mul_f32_e32 v11, 0x3f4a47b2, v24
	v_mul_f32_e32 v24, 0x3d64c772, v8
	;; [unrolled: 1-line block ×3, first 2 shown]
	v_fmac_f32_e32 v35, 0xbf955555, v6
	v_mov_b32_e32 v6, v1
	v_mul_f32_e32 v3, 0x3f4a47b2, v3
	v_mul_f32_e32 v29, 0x3f08b237, v34
	s_mov_b32 s0, 0xbf5ff5aa
	v_fmac_f32_e32 v6, 0xbf955555, v9
	v_fma_f32 v9, v30, s1, -v24
	v_fma_f32 v24, v31, s1, -v28
	s_mov_b32 s1, 0xbf3bfb3b
	v_sub_f32_e32 v4, v2, v4
	v_add_f32_e32 v2, v33, v2
	v_mul_f32_e32 v33, 0xbf5ff5aa, v7
	v_mul_f32_e32 v34, 0xbf5ff5aa, v36
	v_fma_f32 v28, v30, s1, -v3
	v_fmac_f32_e32 v3, 0x3d64c772, v8
	v_fma_f32 v8, v31, s1, -v11
	v_fmac_f32_e32 v11, 0x3d64c772, v25
	v_fma_f32 v25, v7, s0, -v29
	v_fma_f32 v30, v36, s0, -v32
	s_mov_b32 s0, 0x3eae86e6
	v_fmac_f32_e32 v29, 0xbeae86e6, v5
	v_fmac_f32_e32 v32, 0xbeae86e6, v4
	v_fma_f32 v31, v5, s0, -v33
	v_fma_f32 v33, v4, s0, -v34
	v_add_f32_e32 v34, v3, v35
	v_add_f32_e32 v36, v11, v6
	;; [unrolled: 1-line block ×6, first 2 shown]
	v_fmac_f32_e32 v29, 0xbee1c552, v10
	v_fmac_f32_e32 v32, 0xbee1c552, v2
	;; [unrolled: 1-line block ×6, first 2 shown]
	v_add_f32_e32 v2, v32, v34
	v_sub_f32_e32 v3, v36, v29
	v_add_f32_e32 v4, v33, v24
	v_sub_f32_e32 v5, v28, v31
	v_sub_f32_e32 v6, v9, v30
	v_add_f32_e32 v7, v25, v11
	v_add_f32_e32 v8, v30, v9
	v_sub_f32_e32 v9, v11, v25
	v_sub_f32_e32 v10, v24, v33
	v_add_f32_e32 v11, v31, v28
	v_sub_f32_e32 v24, v34, v32
	v_add_f32_e32 v25, v29, v36
	s_barrier
	ds_write2_b64 v48, v[0:1], v[2:3] offset1:8
	ds_write2_b64 v48, v[4:5], v[6:7] offset0:16 offset1:24
	ds_write2_b64 v48, v[8:9], v[10:11] offset0:32 offset1:40
	ds_write_b64 v48, v[24:25] offset:384
	s_waitcnt lgkmcnt(0)
	s_barrier
	s_and_saveexec_b64 s[0:1], vcc
	s_cbranch_execz .LBB0_19
; %bb.18:
	v_add_u32_e32 v8, 0x400, v46
	v_add_u32_e32 v24, 0x800, v46
	ds_read2_b64 v[0:3], v46 offset1:56
	ds_read2_b64 v[4:7], v46 offset0:112 offset1:168
	ds_read2_b64 v[8:11], v8 offset0:96 offset1:152
	;; [unrolled: 1-line block ×3, first 2 shown]
.LBB0_19:
	s_or_b64 exec, exec, s[0:1]
	s_and_saveexec_b64 s[0:1], vcc
	s_cbranch_execz .LBB0_21
; %bb.20:
	s_waitcnt lgkmcnt(1)
	v_mul_f32_e32 v28, v15, v8
	v_fma_f32 v28, v14, v9, -v28
	v_mul_f32_e32 v35, v13, v7
	v_sub_f32_e32 v29, v1, v28
	v_mul_f32_e32 v30, v23, v5
	s_waitcnt lgkmcnt(0)
	v_mul_f32_e32 v28, v19, v25
	v_fmac_f32_e32 v35, v12, v6
	v_mul_f32_e32 v6, v13, v6
	v_fmac_f32_e32 v30, v22, v4
	v_fmac_f32_e32 v28, v18, v24
	v_fma_f32 v6, v12, v7, -v6
	v_mul_f32_e32 v12, v21, v3
	v_sub_f32_e32 v31, v30, v28
	v_mul_f32_e32 v28, v21, v2
	v_fmac_f32_e32 v12, v20, v2
	v_mul_f32_e32 v2, v17, v11
	v_fmac_f32_e32 v2, v16, v10
	v_fma_f32 v33, v20, v3, -v28
	v_mul_f32_e32 v28, v17, v10
	v_sub_f32_e32 v10, v12, v2
	v_mul_f32_e32 v2, v23, v4
	v_fma_f32 v4, v22, v5, -v2
	v_mul_f32_e32 v2, v19, v24
	v_fma_f32 v2, v18, v25, -v2
	v_fma_f32 v28, v16, v11, -v28
	v_sub_f32_e32 v5, v4, v2
	v_mul_f32_e32 v2, v15, v9
	v_sub_f32_e32 v34, v33, v28
	v_mul_f32_e32 v28, v42, v27
	v_mul_f32_e32 v7, v42, v26
	v_fmac_f32_e32 v2, v14, v8
	v_fmac_f32_e32 v28, v41, v26
	v_fma_f32 v7, v41, v27, -v7
	v_sub_f32_e32 v8, v0, v2
	v_sub_f32_e32 v32, v29, v31
	;; [unrolled: 1-line block ×4, first 2 shown]
	v_fma_f32 v17, v0, 2.0, -v8
	v_fma_f32 v0, v30, 2.0, -v31
	v_sub_f32_e32 v37, v34, v36
	v_sub_f32_e32 v18, v17, v0
	v_fma_f32 v0, v6, 2.0, -v7
	v_fma_f32 v6, v29, 2.0, -v32
	v_add_f32_e32 v11, v7, v10
	v_fma_f32 v21, v34, 2.0, -v37
	v_mov_b32_e32 v7, v6
	v_add_f32_e32 v13, v5, v8
	v_fma_f32 v12, v12, 2.0, -v10
	v_fmac_f32_e32 v7, 0xbf3504f3, v21
	v_fma_f32 v10, v10, 2.0, -v11
	v_mov_b32_e32 v28, v32
	v_fma_f32 v14, v1, 2.0, -v29
	v_fma_f32 v1, v4, 2.0, -v5
	v_fma_f32 v19, v33, 2.0, -v34
	v_fmac_f32_e32 v7, 0xbf3504f3, v10
	v_fma_f32 v8, v8, 2.0, -v13
	v_fmac_f32_e32 v28, 0x3f3504f3, v37
	v_mov_b32_e32 v27, v13
	v_sub_f32_e32 v15, v14, v1
	v_sub_f32_e32 v20, v19, v0
	v_fma_f32 v9, v6, 2.0, -v7
	v_mov_b32_e32 v6, v8
	v_fmac_f32_e32 v28, 0xbf3504f3, v11
	v_fmac_f32_e32 v27, 0x3f3504f3, v11
	v_fma_f32 v1, v35, 2.0, -v36
	v_fmac_f32_e32 v6, 0xbf3504f3, v10
	v_fma_f32 v10, v14, 2.0, -v15
	v_fma_f32 v11, v19, 2.0, -v20
	v_fmac_f32_e32 v27, 0x3f3504f3, v37
	v_sub_f32_e32 v16, v12, v1
	v_sub_f32_e32 v11, v10, v11
	v_fma_f32 v2, v13, 2.0, -v27
	v_fma_f32 v13, v10, 2.0, -v11
	;; [unrolled: 1-line block ×4, first 2 shown]
	v_sub_f32_e32 v10, v14, v10
	v_sub_f32_e32 v1, v15, v16
	v_add_f32_e32 v0, v18, v20
	v_fmac_f32_e32 v6, 0x3f3504f3, v21
	v_fma_f32 v12, v14, 2.0, -v10
	v_fma_f32 v5, v15, 2.0, -v1
	;; [unrolled: 1-line block ×4, first 2 shown]
	ds_write_b64 v46, v[12:13]
	v_lshl_add_u32 v12, v43, 3, v47
	v_fma_f32 v3, v32, 2.0, -v28
	ds_write2_b64 v12, v[8:9], v[4:5] offset0:56 offset1:112
	ds_write2_b64 v12, v[2:3], v[10:11] offset0:168 offset1:224
	v_add_u32_e32 v2, 0x800, v12
	ds_write2_b64 v2, v[6:7], v[0:1] offset0:24 offset1:80
	ds_write_b64 v12, v[27:28] offset:3136
.LBB0_21:
	s_or_b64 exec, exec, s[0:1]
	s_waitcnt lgkmcnt(0)
	s_barrier
	s_and_b64 exec, exec, vcc
	s_cbranch_execz .LBB0_23
; %bb.22:
	global_load_dwordx2 v[8:9], v44, s[10:11]
	global_load_dwordx2 v[10:11], v44, s[10:11] offset:448
	global_load_dwordx2 v[12:13], v44, s[10:11] offset:896
	;; [unrolled: 1-line block ×7, first 2 shown]
	v_mad_u64_u32 v[18:19], s[0:1], s6, v40, 0
	v_mad_u64_u32 v[20:21], s[2:3], s4, v43, 0
	s_mul_i32 s3, s5, 0x1c0
	s_mul_hi_u32 s6, s4, 0x1c0
	s_add_i32 s3, s6, s3
	v_mad_u64_u32 v[32:33], s[6:7], s7, v40, v[19:20]
	s_mul_i32 s2, s4, 0x1c0
	v_mov_b32_e32 v35, s9
	v_mov_b32_e32 v19, v32
	v_lshlrev_b64 v[18:19], 3, v[18:19]
	v_lshl_add_u32 v36, v45, 3, v44
	v_add_co_u32_e32 v18, vcc, s8, v18
	v_addc_co_u32_e32 v19, vcc, v35, v19, vcc
	ds_read2_b64 v[0:3], v36 offset0:56 offset1:112
	ds_read2_b64 v[4:7], v36 offset0:168 offset1:224
	ds_read_b64 v[28:29], v46
	ds_read_b64 v[30:31], v36 offset:3136
	v_mov_b32_e32 v37, s3
	s_mov_b32 s0, 0x92492492
	s_mov_b32 s1, 0x3f624924
	v_mov_b32_e32 v38, s3
	s_waitcnt vmcnt(6) lgkmcnt(3)
	v_mul_f32_e32 v35, v1, v11
	v_mul_f32_e32 v11, v0, v11
	s_waitcnt vmcnt(2)
	v_mad_u64_u32 v[33:34], s[4:5], s5, v43, v[21:22]
	v_mov_b32_e32 v34, s3
	s_waitcnt lgkmcnt(2)
	v_mul_f32_e32 v39, v5, v15
	v_mov_b32_e32 v21, v33
	v_lshlrev_b64 v[20:21], 3, v[20:21]
	v_mul_f32_e32 v15, v4, v15
	v_add_co_u32_e32 v18, vcc, v18, v20
	v_addc_co_u32_e32 v19, vcc, v19, v21, vcc
	v_add_co_u32_e32 v20, vcc, s2, v18
	v_addc_co_u32_e32 v21, vcc, v19, v37, vcc
	;; [unrolled: 2-line block ×3, first 2 shown]
	s_waitcnt lgkmcnt(1)
	v_mul_f32_e32 v34, v29, v9
	v_mul_f32_e32 v9, v28, v9
	;; [unrolled: 1-line block ×4, first 2 shown]
	v_fmac_f32_e32 v34, v28, v8
	v_fma_f32 v8, v8, v29, -v9
	v_fmac_f32_e32 v35, v0, v10
	v_fma_f32 v9, v10, v1, -v11
	;; [unrolled: 2-line block ×3, first 2 shown]
	v_cvt_f64_f32_e32 v[0:1], v34
	v_cvt_f64_f32_e32 v[2:3], v8
	v_fmac_f32_e32 v39, v4, v14
	v_fma_f32 v28, v14, v5, -v15
	v_cvt_f64_f32_e32 v[4:5], v35
	v_cvt_f64_f32_e32 v[8:9], v9
	;; [unrolled: 1-line block ×4, first 2 shown]
	v_mul_f64 v[0:1], v[0:1], s[0:1]
	v_mul_f64 v[2:3], v[2:3], s[0:1]
	;; [unrolled: 1-line block ×6, first 2 shown]
	v_cvt_f64_f32_e32 v[14:15], v39
	v_cvt_f64_f32_e32 v[28:29], v28
	v_cvt_f32_f64_e32 v0, v[0:1]
	v_cvt_f32_f64_e32 v1, v[2:3]
	v_mul_f64 v[14:15], v[14:15], s[0:1]
	v_mul_f64 v[28:29], v[28:29], s[0:1]
	v_cvt_f32_f64_e32 v2, v[4:5]
	v_cvt_f32_f64_e32 v3, v[8:9]
	;; [unrolled: 1-line block ×4, first 2 shown]
	global_store_dwordx2 v[18:19], v[0:1], off
	global_store_dwordx2 v[20:21], v[2:3], off
	;; [unrolled: 1-line block ×3, first 2 shown]
	v_mul_f32_e32 v0, v6, v17
	v_mul_f32_e32 v40, v7, v17
	v_fma_f32 v0, v16, v7, -v0
	v_fmac_f32_e32 v40, v6, v16
	v_cvt_f64_f32_e32 v[4:5], v0
	v_add_u32_e32 v0, 0x800, v36
	v_cvt_f64_f32_e32 v[34:35], v40
	v_cvt_f32_f64_e32 v8, v[14:15]
	v_cvt_f32_f64_e32 v9, v[28:29]
	ds_read2_b64 v[0:3], v0 offset0:24 offset1:80
	v_add_co_u32_e32 v6, vcc, s2, v32
	v_addc_co_u32_e32 v7, vcc, v33, v38, vcc
	global_store_dwordx2 v[6:7], v[8:9], off
	v_mul_f64 v[8:9], v[34:35], s[0:1]
	v_mul_f64 v[4:5], v[4:5], s[0:1]
	s_waitcnt lgkmcnt(0)
	v_mul_f32_e32 v10, v1, v23
	v_fmac_f32_e32 v10, v0, v22
	v_mul_f32_e32 v0, v0, v23
	v_fma_f32 v0, v22, v1, -v0
	v_cvt_f64_f32_e32 v[10:11], v10
	v_cvt_f64_f32_e32 v[0:1], v0
	v_cvt_f32_f64_e32 v8, v[8:9]
	v_cvt_f32_f64_e32 v9, v[4:5]
	v_mul_f64 v[4:5], v[10:11], s[0:1]
	v_mul_f64 v[0:1], v[0:1], s[0:1]
	v_mov_b32_e32 v10, s3
	v_add_co_u32_e32 v6, vcc, s2, v6
	v_addc_co_u32_e32 v7, vcc, v7, v10, vcc
	global_store_dwordx2 v[6:7], v[8:9], off
	v_cvt_f32_f64_e32 v4, v[4:5]
	v_cvt_f32_f64_e32 v5, v[0:1]
	s_waitcnt vmcnt(6)
	v_mul_f32_e32 v0, v3, v25
	v_fmac_f32_e32 v0, v2, v24
	v_mul_f32_e32 v2, v2, v25
	v_fma_f32 v2, v24, v3, -v2
	v_cvt_f64_f32_e32 v[0:1], v0
	v_cvt_f64_f32_e32 v[2:3], v2
	v_mov_b32_e32 v8, s3
	v_add_co_u32_e32 v6, vcc, s2, v6
	v_mul_f64 v[0:1], v[0:1], s[0:1]
	v_mul_f64 v[2:3], v[2:3], s[0:1]
	v_addc_co_u32_e32 v7, vcc, v7, v8, vcc
	global_store_dwordx2 v[6:7], v[4:5], off
	s_waitcnt vmcnt(6)
	v_mul_f32_e32 v4, v31, v27
	v_mul_f32_e32 v8, v30, v27
	v_fmac_f32_e32 v4, v30, v26
	v_fma_f32 v8, v26, v31, -v8
	v_cvt_f64_f32_e32 v[4:5], v4
	v_cvt_f64_f32_e32 v[8:9], v8
	v_cvt_f32_f64_e32 v0, v[0:1]
	v_cvt_f32_f64_e32 v1, v[2:3]
	v_mul_f64 v[2:3], v[4:5], s[0:1]
	v_mul_f64 v[4:5], v[8:9], s[0:1]
	v_mov_b32_e32 v8, s3
	v_add_co_u32_e32 v6, vcc, s2, v6
	v_addc_co_u32_e32 v7, vcc, v7, v8, vcc
	global_store_dwordx2 v[6:7], v[0:1], off
	v_cvt_f32_f64_e32 v0, v[2:3]
	v_cvt_f32_f64_e32 v1, v[4:5]
	v_mov_b32_e32 v3, s3
	v_add_co_u32_e32 v2, vcc, s2, v6
	v_addc_co_u32_e32 v3, vcc, v7, v3, vcc
	global_store_dwordx2 v[2:3], v[0:1], off
.LBB0_23:
	s_endpgm
	.section	.rodata,"a",@progbits
	.p2align	6, 0x0
	.amdhsa_kernel bluestein_single_back_len448_dim1_sp_op_CI_CI
		.amdhsa_group_segment_fixed_size 7168
		.amdhsa_private_segment_fixed_size 0
		.amdhsa_kernarg_size 104
		.amdhsa_user_sgpr_count 6
		.amdhsa_user_sgpr_private_segment_buffer 1
		.amdhsa_user_sgpr_dispatch_ptr 0
		.amdhsa_user_sgpr_queue_ptr 0
		.amdhsa_user_sgpr_kernarg_segment_ptr 1
		.amdhsa_user_sgpr_dispatch_id 0
		.amdhsa_user_sgpr_flat_scratch_init 0
		.amdhsa_user_sgpr_private_segment_size 0
		.amdhsa_uses_dynamic_stack 0
		.amdhsa_system_sgpr_private_segment_wavefront_offset 0
		.amdhsa_system_sgpr_workgroup_id_x 1
		.amdhsa_system_sgpr_workgroup_id_y 0
		.amdhsa_system_sgpr_workgroup_id_z 0
		.amdhsa_system_sgpr_workgroup_info 0
		.amdhsa_system_vgpr_workitem_id 0
		.amdhsa_next_free_vgpr 63
		.amdhsa_next_free_sgpr 16
		.amdhsa_reserve_vcc 1
		.amdhsa_reserve_flat_scratch 0
		.amdhsa_float_round_mode_32 0
		.amdhsa_float_round_mode_16_64 0
		.amdhsa_float_denorm_mode_32 3
		.amdhsa_float_denorm_mode_16_64 3
		.amdhsa_dx10_clamp 1
		.amdhsa_ieee_mode 1
		.amdhsa_fp16_overflow 0
		.amdhsa_exception_fp_ieee_invalid_op 0
		.amdhsa_exception_fp_denorm_src 0
		.amdhsa_exception_fp_ieee_div_zero 0
		.amdhsa_exception_fp_ieee_overflow 0
		.amdhsa_exception_fp_ieee_underflow 0
		.amdhsa_exception_fp_ieee_inexact 0
		.amdhsa_exception_int_div_zero 0
	.end_amdhsa_kernel
	.text
.Lfunc_end0:
	.size	bluestein_single_back_len448_dim1_sp_op_CI_CI, .Lfunc_end0-bluestein_single_back_len448_dim1_sp_op_CI_CI
                                        ; -- End function
	.section	.AMDGPU.csdata,"",@progbits
; Kernel info:
; codeLenInByte = 5800
; NumSgprs: 20
; NumVgprs: 63
; ScratchSize: 0
; MemoryBound: 0
; FloatMode: 240
; IeeeMode: 1
; LDSByteSize: 7168 bytes/workgroup (compile time only)
; SGPRBlocks: 2
; VGPRBlocks: 15
; NumSGPRsForWavesPerEU: 20
; NumVGPRsForWavesPerEU: 63
; Occupancy: 4
; WaveLimiterHint : 1
; COMPUTE_PGM_RSRC2:SCRATCH_EN: 0
; COMPUTE_PGM_RSRC2:USER_SGPR: 6
; COMPUTE_PGM_RSRC2:TRAP_HANDLER: 0
; COMPUTE_PGM_RSRC2:TGID_X_EN: 1
; COMPUTE_PGM_RSRC2:TGID_Y_EN: 0
; COMPUTE_PGM_RSRC2:TGID_Z_EN: 0
; COMPUTE_PGM_RSRC2:TIDIG_COMP_CNT: 0
	.type	__hip_cuid_e29a8f3eb59b5447,@object ; @__hip_cuid_e29a8f3eb59b5447
	.section	.bss,"aw",@nobits
	.globl	__hip_cuid_e29a8f3eb59b5447
__hip_cuid_e29a8f3eb59b5447:
	.byte	0                               ; 0x0
	.size	__hip_cuid_e29a8f3eb59b5447, 1

	.ident	"AMD clang version 19.0.0git (https://github.com/RadeonOpenCompute/llvm-project roc-6.4.0 25133 c7fe45cf4b819c5991fe208aaa96edf142730f1d)"
	.section	".note.GNU-stack","",@progbits
	.addrsig
	.addrsig_sym __hip_cuid_e29a8f3eb59b5447
	.amdgpu_metadata
---
amdhsa.kernels:
  - .args:
      - .actual_access:  read_only
        .address_space:  global
        .offset:         0
        .size:           8
        .value_kind:     global_buffer
      - .actual_access:  read_only
        .address_space:  global
        .offset:         8
        .size:           8
        .value_kind:     global_buffer
      - .actual_access:  read_only
        .address_space:  global
        .offset:         16
        .size:           8
        .value_kind:     global_buffer
      - .actual_access:  read_only
        .address_space:  global
        .offset:         24
        .size:           8
        .value_kind:     global_buffer
      - .actual_access:  read_only
        .address_space:  global
        .offset:         32
        .size:           8
        .value_kind:     global_buffer
      - .offset:         40
        .size:           8
        .value_kind:     by_value
      - .address_space:  global
        .offset:         48
        .size:           8
        .value_kind:     global_buffer
      - .address_space:  global
        .offset:         56
        .size:           8
        .value_kind:     global_buffer
      - .address_space:  global
        .offset:         64
        .size:           8
        .value_kind:     global_buffer
      - .address_space:  global
        .offset:         72
        .size:           8
        .value_kind:     global_buffer
      - .offset:         80
        .size:           4
        .value_kind:     by_value
      - .address_space:  global
        .offset:         88
        .size:           8
        .value_kind:     global_buffer
      - .address_space:  global
        .offset:         96
        .size:           8
        .value_kind:     global_buffer
    .group_segment_fixed_size: 7168
    .kernarg_segment_align: 8
    .kernarg_segment_size: 104
    .language:       OpenCL C
    .language_version:
      - 2
      - 0
    .max_flat_workgroup_size: 128
    .name:           bluestein_single_back_len448_dim1_sp_op_CI_CI
    .private_segment_fixed_size: 0
    .sgpr_count:     20
    .sgpr_spill_count: 0
    .symbol:         bluestein_single_back_len448_dim1_sp_op_CI_CI.kd
    .uniform_work_group_size: 1
    .uses_dynamic_stack: false
    .vgpr_count:     63
    .vgpr_spill_count: 0
    .wavefront_size: 64
amdhsa.target:   amdgcn-amd-amdhsa--gfx906
amdhsa.version:
  - 1
  - 2
...

	.end_amdgpu_metadata
